;; amdgpu-corpus repo=ROCm/rocFFT kind=compiled arch=gfx906 opt=O3
	.text
	.amdgcn_target "amdgcn-amd-amdhsa--gfx906"
	.amdhsa_code_object_version 6
	.protected	fft_rtc_back_len880_factors_2_2_2_2_11_5_wgs_176_tpt_88_halfLds_half_op_CI_CI_unitstride_sbrr_R2C_dirReg ; -- Begin function fft_rtc_back_len880_factors_2_2_2_2_11_5_wgs_176_tpt_88_halfLds_half_op_CI_CI_unitstride_sbrr_R2C_dirReg
	.globl	fft_rtc_back_len880_factors_2_2_2_2_11_5_wgs_176_tpt_88_halfLds_half_op_CI_CI_unitstride_sbrr_R2C_dirReg
	.p2align	8
	.type	fft_rtc_back_len880_factors_2_2_2_2_11_5_wgs_176_tpt_88_halfLds_half_op_CI_CI_unitstride_sbrr_R2C_dirReg,@function
fft_rtc_back_len880_factors_2_2_2_2_11_5_wgs_176_tpt_88_halfLds_half_op_CI_CI_unitstride_sbrr_R2C_dirReg: ; @fft_rtc_back_len880_factors_2_2_2_2_11_5_wgs_176_tpt_88_halfLds_half_op_CI_CI_unitstride_sbrr_R2C_dirReg
; %bb.0:
	s_load_dwordx4 s[8:11], s[4:5], 0x58
	s_load_dwordx4 s[12:15], s[4:5], 0x0
	;; [unrolled: 1-line block ×3, first 2 shown]
	v_mul_u32_u24_e32 v1, 0x2e9, v0
	v_lshrrev_b32_e32 v9, 16, v1
	v_mov_b32_e32 v5, 0
	s_waitcnt lgkmcnt(0)
	v_cmp_lt_u64_e64 s[0:1], s[14:15], 2
	v_mov_b32_e32 v14, 0
	v_lshl_add_u32 v7, s6, 1, v9
	v_mov_b32_e32 v8, v5
	s_and_b64 vcc, exec, s[0:1]
	v_mov_b32_e32 v15, 0
	s_cbranch_vccnz .LBB0_8
; %bb.1:
	s_load_dwordx2 s[0:1], s[4:5], 0x10
	s_add_u32 s2, s18, 8
	s_addc_u32 s3, s19, 0
	s_add_u32 s6, s16, 8
	s_addc_u32 s7, s17, 0
	v_mov_b32_e32 v14, 0
	s_waitcnt lgkmcnt(0)
	s_add_u32 s20, s0, 8
	v_mov_b32_e32 v15, 0
	v_mov_b32_e32 v1, v14
	s_addc_u32 s21, s1, 0
	s_mov_b64 s[22:23], 1
	v_mov_b32_e32 v2, v15
.LBB0_2:                                ; =>This Inner Loop Header: Depth=1
	s_load_dwordx2 s[24:25], s[20:21], 0x0
                                        ; implicit-def: $vgpr3_vgpr4
	s_waitcnt lgkmcnt(0)
	v_or_b32_e32 v6, s25, v8
	v_cmp_ne_u64_e32 vcc, 0, v[5:6]
	s_and_saveexec_b64 s[0:1], vcc
	s_xor_b64 s[26:27], exec, s[0:1]
	s_cbranch_execz .LBB0_4
; %bb.3:                                ;   in Loop: Header=BB0_2 Depth=1
	v_cvt_f32_u32_e32 v3, s24
	v_cvt_f32_u32_e32 v4, s25
	s_sub_u32 s0, 0, s24
	s_subb_u32 s1, 0, s25
	v_mac_f32_e32 v3, 0x4f800000, v4
	v_rcp_f32_e32 v3, v3
	v_mul_f32_e32 v3, 0x5f7ffffc, v3
	v_mul_f32_e32 v4, 0x2f800000, v3
	v_trunc_f32_e32 v4, v4
	v_mac_f32_e32 v3, 0xcf800000, v4
	v_cvt_u32_f32_e32 v4, v4
	v_cvt_u32_f32_e32 v3, v3
	v_mul_lo_u32 v6, s0, v4
	v_mul_hi_u32 v10, s0, v3
	v_mul_lo_u32 v12, s1, v3
	v_mul_lo_u32 v11, s0, v3
	v_add_u32_e32 v6, v10, v6
	v_add_u32_e32 v6, v6, v12
	v_mul_hi_u32 v10, v3, v11
	v_mul_lo_u32 v12, v3, v6
	v_mul_hi_u32 v16, v3, v6
	v_mul_hi_u32 v13, v4, v11
	v_mul_lo_u32 v11, v4, v11
	v_mul_hi_u32 v17, v4, v6
	v_add_co_u32_e32 v10, vcc, v10, v12
	v_addc_co_u32_e32 v12, vcc, 0, v16, vcc
	v_mul_lo_u32 v6, v4, v6
	v_add_co_u32_e32 v10, vcc, v10, v11
	v_addc_co_u32_e32 v10, vcc, v12, v13, vcc
	v_addc_co_u32_e32 v11, vcc, 0, v17, vcc
	v_add_co_u32_e32 v6, vcc, v10, v6
	v_addc_co_u32_e32 v10, vcc, 0, v11, vcc
	v_add_co_u32_e32 v3, vcc, v3, v6
	v_addc_co_u32_e32 v4, vcc, v4, v10, vcc
	v_mul_lo_u32 v6, s0, v4
	v_mul_hi_u32 v10, s0, v3
	v_mul_lo_u32 v11, s1, v3
	v_mul_lo_u32 v12, s0, v3
	v_add_u32_e32 v6, v10, v6
	v_add_u32_e32 v6, v6, v11
	v_mul_lo_u32 v13, v3, v6
	v_mul_hi_u32 v16, v3, v12
	v_mul_hi_u32 v17, v3, v6
	;; [unrolled: 1-line block ×3, first 2 shown]
	v_mul_lo_u32 v12, v4, v12
	v_mul_hi_u32 v10, v4, v6
	v_add_co_u32_e32 v13, vcc, v16, v13
	v_addc_co_u32_e32 v16, vcc, 0, v17, vcc
	v_mul_lo_u32 v6, v4, v6
	v_add_co_u32_e32 v12, vcc, v13, v12
	v_addc_co_u32_e32 v11, vcc, v16, v11, vcc
	v_addc_co_u32_e32 v10, vcc, 0, v10, vcc
	v_add_co_u32_e32 v6, vcc, v11, v6
	v_addc_co_u32_e32 v10, vcc, 0, v10, vcc
	v_add_co_u32_e32 v6, vcc, v3, v6
	v_addc_co_u32_e32 v10, vcc, v4, v10, vcc
	v_mad_u64_u32 v[3:4], s[0:1], v7, v10, 0
	v_mul_hi_u32 v11, v7, v6
	v_add_co_u32_e32 v12, vcc, v11, v3
	v_addc_co_u32_e32 v13, vcc, 0, v4, vcc
	v_mad_u64_u32 v[3:4], s[0:1], v8, v6, 0
	v_mad_u64_u32 v[10:11], s[0:1], v8, v10, 0
	v_add_co_u32_e32 v3, vcc, v12, v3
	v_addc_co_u32_e32 v3, vcc, v13, v4, vcc
	v_addc_co_u32_e32 v4, vcc, 0, v11, vcc
	v_add_co_u32_e32 v6, vcc, v3, v10
	v_addc_co_u32_e32 v10, vcc, 0, v4, vcc
	v_mul_lo_u32 v11, s25, v6
	v_mul_lo_u32 v12, s24, v10
	v_mad_u64_u32 v[3:4], s[0:1], s24, v6, 0
	v_add3_u32 v4, v4, v12, v11
	v_sub_u32_e32 v11, v8, v4
	v_mov_b32_e32 v12, s25
	v_sub_co_u32_e32 v3, vcc, v7, v3
	v_subb_co_u32_e64 v11, s[0:1], v11, v12, vcc
	v_subrev_co_u32_e64 v12, s[0:1], s24, v3
	v_subbrev_co_u32_e64 v11, s[0:1], 0, v11, s[0:1]
	v_cmp_le_u32_e64 s[0:1], s25, v11
	v_cndmask_b32_e64 v13, 0, -1, s[0:1]
	v_cmp_le_u32_e64 s[0:1], s24, v12
	v_cndmask_b32_e64 v12, 0, -1, s[0:1]
	v_cmp_eq_u32_e64 s[0:1], s25, v11
	v_cndmask_b32_e64 v11, v13, v12, s[0:1]
	v_add_co_u32_e64 v12, s[0:1], 2, v6
	v_addc_co_u32_e64 v13, s[0:1], 0, v10, s[0:1]
	v_add_co_u32_e64 v16, s[0:1], 1, v6
	v_addc_co_u32_e64 v17, s[0:1], 0, v10, s[0:1]
	v_subb_co_u32_e32 v4, vcc, v8, v4, vcc
	v_cmp_ne_u32_e64 s[0:1], 0, v11
	v_cmp_le_u32_e32 vcc, s25, v4
	v_cndmask_b32_e64 v11, v17, v13, s[0:1]
	v_cndmask_b32_e64 v13, 0, -1, vcc
	v_cmp_le_u32_e32 vcc, s24, v3
	v_cndmask_b32_e64 v3, 0, -1, vcc
	v_cmp_eq_u32_e32 vcc, s25, v4
	v_cndmask_b32_e32 v3, v13, v3, vcc
	v_cmp_ne_u32_e32 vcc, 0, v3
	v_cndmask_b32_e64 v3, v16, v12, s[0:1]
	v_cndmask_b32_e32 v4, v10, v11, vcc
	v_cndmask_b32_e32 v3, v6, v3, vcc
.LBB0_4:                                ;   in Loop: Header=BB0_2 Depth=1
	s_andn2_saveexec_b64 s[0:1], s[26:27]
	s_cbranch_execz .LBB0_6
; %bb.5:                                ;   in Loop: Header=BB0_2 Depth=1
	v_cvt_f32_u32_e32 v3, s24
	s_sub_i32 s26, 0, s24
	v_rcp_iflag_f32_e32 v3, v3
	v_mul_f32_e32 v3, 0x4f7ffffe, v3
	v_cvt_u32_f32_e32 v3, v3
	v_mul_lo_u32 v4, s26, v3
	v_mul_hi_u32 v4, v3, v4
	v_add_u32_e32 v3, v3, v4
	v_mul_hi_u32 v3, v7, v3
	v_mul_lo_u32 v4, v3, s24
	v_add_u32_e32 v6, 1, v3
	v_sub_u32_e32 v4, v7, v4
	v_subrev_u32_e32 v10, s24, v4
	v_cmp_le_u32_e32 vcc, s24, v4
	v_cndmask_b32_e32 v4, v4, v10, vcc
	v_cndmask_b32_e32 v3, v3, v6, vcc
	v_add_u32_e32 v6, 1, v3
	v_cmp_le_u32_e32 vcc, s24, v4
	v_cndmask_b32_e32 v3, v3, v6, vcc
	v_mov_b32_e32 v4, v5
.LBB0_6:                                ;   in Loop: Header=BB0_2 Depth=1
	s_or_b64 exec, exec, s[0:1]
	v_mul_lo_u32 v6, v4, s24
	v_mul_lo_u32 v12, v3, s25
	v_mad_u64_u32 v[10:11], s[0:1], v3, s24, 0
	s_load_dwordx2 s[0:1], s[6:7], 0x0
	s_load_dwordx2 s[24:25], s[2:3], 0x0
	v_add3_u32 v6, v11, v12, v6
	v_sub_co_u32_e32 v7, vcc, v7, v10
	v_subb_co_u32_e32 v6, vcc, v8, v6, vcc
	s_waitcnt lgkmcnt(0)
	v_mul_lo_u32 v8, s0, v6
	v_mul_lo_u32 v10, s1, v7
	v_mad_u64_u32 v[14:15], s[0:1], s0, v7, v[14:15]
	v_mul_lo_u32 v6, s24, v6
	v_mul_lo_u32 v11, s25, v7
	v_mad_u64_u32 v[1:2], s[0:1], s24, v7, v[1:2]
	s_add_u32 s22, s22, 1
	s_addc_u32 s23, s23, 0
	s_add_u32 s2, s2, 8
	v_add3_u32 v2, v11, v2, v6
	s_addc_u32 s3, s3, 0
	v_mov_b32_e32 v6, s14
	s_add_u32 s6, s6, 8
	v_mov_b32_e32 v7, s15
	s_addc_u32 s7, s7, 0
	v_cmp_ge_u64_e32 vcc, s[22:23], v[6:7]
	s_add_u32 s20, s20, 8
	v_add3_u32 v15, v10, v15, v8
	s_addc_u32 s21, s21, 0
	s_cbranch_vccnz .LBB0_9
; %bb.7:                                ;   in Loop: Header=BB0_2 Depth=1
	v_mov_b32_e32 v8, v4
	v_mov_b32_e32 v7, v3
	s_branch .LBB0_2
.LBB0_8:
	v_mov_b32_e32 v1, v14
	v_mov_b32_e32 v3, v7
	;; [unrolled: 1-line block ×4, first 2 shown]
.LBB0_9:
	s_load_dwordx2 s[2:3], s[4:5], 0x28
	s_lshl_b64 s[6:7], s[14:15], 3
	s_add_u32 s4, s18, s6
	v_and_b32_e32 v5, 1, v9
	s_addc_u32 s5, s19, s7
	s_waitcnt lgkmcnt(0)
	v_cmp_gt_u64_e32 vcc, s[2:3], v[3:4]
	v_cmp_le_u64_e64 s[2:3], s[2:3], v[3:4]
	v_cmp_eq_u32_e64 s[0:1], 1, v5
	v_mov_b32_e32 v6, 0x371
                                        ; implicit-def: $vgpr5
                                        ; implicit-def: $vgpr7
                                        ; implicit-def: $vgpr13
                                        ; implicit-def: $vgpr11
                                        ; implicit-def: $vgpr9
	s_and_saveexec_b64 s[14:15], s[2:3]
	s_xor_b64 s[2:3], exec, s[14:15]
; %bb.10:
	s_mov_b32 s14, 0x2e8ba2f
	v_mul_hi_u32 v5, v0, s14
                                        ; implicit-def: $vgpr14_vgpr15
	v_mul_u32_u24_e32 v5, 0x58, v5
	v_sub_u32_e32 v5, v0, v5
	v_add_u32_e32 v7, 0x58, v5
	v_add_u32_e32 v13, 0xb0, v5
	;; [unrolled: 1-line block ×4, first 2 shown]
                                        ; implicit-def: $vgpr0
; %bb.11:
	s_or_saveexec_b64 s[2:3], s[2:3]
	v_cndmask_b32_e64 v6, 0, v6, s[0:1]
	v_lshlrev_b32_e32 v12, 2, v6
	s_xor_b64 exec, exec, s[2:3]
	s_cbranch_execz .LBB0_13
; %bb.12:
	s_add_u32 s0, s16, s6
	s_addc_u32 s1, s17, s7
	s_load_dwordx2 s[0:1], s[0:1], 0x0
	s_mov_b32 s6, 0x2e8ba2f
	v_mul_hi_u32 v5, v0, s6
	s_waitcnt lgkmcnt(0)
	v_mul_lo_u32 v8, s1, v3
	v_mul_lo_u32 v9, s0, v4
	v_mad_u64_u32 v[6:7], s[0:1], s0, v3, 0
	v_mul_u32_u24_e32 v5, 0x58, v5
	v_sub_u32_e32 v5, v0, v5
	v_add3_u32 v7, v7, v9, v8
	v_lshlrev_b64 v[6:7], 2, v[6:7]
	v_mov_b32_e32 v0, s9
	v_add_co_u32_e64 v8, s[0:1], s8, v6
	v_addc_co_u32_e64 v0, s[0:1], v0, v7, s[0:1]
	v_lshlrev_b64 v[6:7], 2, v[14:15]
	v_add_u32_e32 v13, 0xb0, v5
	v_add_co_u32_e64 v6, s[0:1], v8, v6
	v_addc_co_u32_e64 v0, s[0:1], v0, v7, s[0:1]
	v_lshlrev_b32_e32 v8, 2, v5
	v_add_co_u32_e64 v6, s[0:1], v6, v8
	v_addc_co_u32_e64 v7, s[0:1], 0, v0, s[0:1]
	global_load_dword v0, v[6:7], off
	global_load_dword v10, v[6:7], off offset:704
	global_load_dword v14, v[6:7], off offset:1056
	;; [unrolled: 1-line block ×9, first 2 shown]
	v_add3_u32 v6, 0, v12, v8
	v_add_u32_e32 v7, 0x58, v5
	v_add_u32_e32 v11, 0x108, v5
	;; [unrolled: 1-line block ×7, first 2 shown]
	s_waitcnt vmcnt(7)
	ds_write2_b32 v8, v10, v14 offset0:48 offset1:136
	s_waitcnt vmcnt(5)
	ds_write2_b32 v22, v15, v16 offset0:96 offset1:184
	s_waitcnt vmcnt(2)
	ds_write2_b32 v6, v0, v19 offset1:88
	ds_write2_b32 v23, v17, v18 offset0:16 offset1:104
	s_waitcnt vmcnt(0)
	ds_write2_b32 v24, v20, v21 offset0:64 offset1:152
.LBB0_13:
	s_or_b64 exec, exec, s[2:3]
	v_lshlrev_b32_e32 v14, 2, v5
	v_add3_u32 v6, 0, v14, v12
	v_add_u32_e32 v0, 0, v12
	v_add_u32_e32 v23, 0x600, v6
	s_load_dwordx2 s[2:3], s[4:5], 0x0
	s_waitcnt lgkmcnt(0)
	s_barrier
	v_add_u32_e32 v10, v0, v14
	ds_read2_b32 v[15:16], v23 offset0:56 offset1:144
	ds_read_b32 v8, v10
	ds_read_b32 v24, v6 offset:3168
	v_add_u32_e32 v30, 0x400, v6
	v_add_u32_e32 v26, 0x800, v6
	ds_read2_b32 v[17:18], v30 offset0:8 offset1:96
	ds_read2_b32 v[19:20], v26 offset0:104 offset1:192
	;; [unrolled: 1-line block ×3, first 2 shown]
	s_waitcnt lgkmcnt(4)
	v_pk_add_f16 v15, v8, v15 neg_lo:[0,1] neg_hi:[0,1]
	v_pk_fma_f16 v8, v8, 2.0, v15 op_sel_hi:[1,0,1] neg_lo:[0,0,1] neg_hi:[0,0,1]
	v_add_u32_e32 v25, v6, v14
	s_waitcnt lgkmcnt(0)
	s_barrier
	ds_write2_b32 v25, v8, v15 offset1:1
	v_pk_add_f16 v8, v21, v16 neg_lo:[0,1] neg_hi:[0,1]
	v_lshl_add_u32 v15, v7, 3, v0
	v_pk_fma_f16 v16, v21, 2.0, v8 op_sel_hi:[1,0,1] neg_lo:[0,0,1] neg_hi:[0,0,1]
	ds_write2_b32 v15, v16, v8 offset1:1
	v_pk_add_f16 v8, v22, v19 neg_lo:[0,1] neg_hi:[0,1]
	v_pk_fma_f16 v16, v22, 2.0, v8 op_sel_hi:[1,0,1] neg_lo:[0,0,1] neg_hi:[0,0,1]
	v_lshl_add_u32 v19, v13, 3, v0
	ds_write2_b32 v19, v16, v8 offset1:1
	v_pk_add_f16 v8, v17, v20 neg_lo:[0,1] neg_hi:[0,1]
	v_lshl_add_u32 v20, v11, 3, v0
	v_pk_fma_f16 v16, v17, 2.0, v8 op_sel_hi:[1,0,1] neg_lo:[0,0,1] neg_hi:[0,0,1]
	ds_write2_b32 v20, v16, v8 offset1:1
	v_pk_add_f16 v8, v18, v24 neg_lo:[0,1] neg_hi:[0,1]
	v_pk_fma_f16 v16, v18, 2.0, v8 op_sel_hi:[1,0,1] neg_lo:[0,0,1] neg_hi:[0,0,1]
	v_lshl_add_u32 v17, v9, 3, v0
	v_and_b32_e32 v21, 1, v5
	ds_write2_b32 v17, v16, v8 offset1:1
	v_lshlrev_b32_e32 v8, 2, v21
	s_waitcnt lgkmcnt(0)
	s_barrier
	global_load_dword v22, v8, s[12:13]
	s_movk_i32 s0, 0xfc
	v_lshlrev_b32_e32 v25, 1, v5
	s_movk_i32 s1, 0x1fc
	v_lshlrev_b32_e32 v31, 1, v7
	s_movk_i32 s5, 0x3fc
	v_lshlrev_b32_e32 v32, 1, v13
	v_lshlrev_b32_e32 v8, 2, v13
	v_lshlrev_b32_e32 v18, 2, v11
	;; [unrolled: 1-line block ×4, first 2 shown]
	v_and_or_b32 v33, v25, s0, v21
	v_and_or_b32 v34, v31, s1, v21
	;; [unrolled: 1-line block ×3, first 2 shown]
	v_sub_u32_e32 v27, v19, v8
	v_sub_u32_e32 v28, v20, v18
	;; [unrolled: 1-line block ×4, first 2 shown]
	v_lshl_add_u32 v15, v33, 2, v0
	v_lshl_add_u32 v24, v34, 2, v0
	;; [unrolled: 1-line block ×3, first 2 shown]
	ds_read2_b32 v[17:18], v23 offset0:56 offset1:144
	ds_read_b32 v34, v10
	ds_read_b32 v35, v28
	;; [unrolled: 1-line block ×5, first 2 shown]
	ds_read_b32 v39, v6 offset:3168
	ds_read2_b32 v[19:20], v26 offset0:104 offset1:192
	s_mov_b32 s4, 0xffff
	s_waitcnt vmcnt(0) lgkmcnt(0)
	s_barrier
	s_movk_i32 s0, 0xf8
	s_movk_i32 s1, 0x1f8
	;; [unrolled: 1-line block ×3, first 2 shown]
	v_pk_mul_f16 v40, v22, v17 op_sel:[0,1]
	v_pk_mul_f16 v41, v22, v18 op_sel:[0,1]
	v_pk_fma_f16 v43, v22, v17, v40 op_sel:[0,0,1] op_sel_hi:[1,1,0]
	v_pk_fma_f16 v17, v22, v17, v40 op_sel:[0,0,1] op_sel_hi:[1,0,0] neg_lo:[1,0,0] neg_hi:[1,0,0]
	v_pk_mul_f16 v42, v22, v19 op_sel:[0,1]
	v_pk_fma_f16 v40, v22, v18, v41 op_sel:[0,0,1] op_sel_hi:[1,1,0]
	v_pk_fma_f16 v18, v22, v18, v41 op_sel:[0,0,1] op_sel_hi:[1,0,0] neg_lo:[1,0,0] neg_hi:[1,0,0]
	v_bfi_b32 v17, s4, v43, v17
	v_pk_fma_f16 v41, v22, v19, v42 op_sel:[0,0,1] op_sel_hi:[1,1,0]
	v_pk_fma_f16 v19, v22, v19, v42 op_sel:[0,0,1] op_sel_hi:[1,0,0] neg_lo:[1,0,0] neg_hi:[1,0,0]
	v_bfi_b32 v18, s4, v40, v18
	v_pk_add_f16 v17, v34, v17 neg_lo:[0,1] neg_hi:[0,1]
	v_bfi_b32 v19, s4, v41, v19
	v_pk_add_f16 v18, v38, v18 neg_lo:[0,1] neg_hi:[0,1]
	v_pk_fma_f16 v34, v34, 2.0, v17 op_sel_hi:[1,0,1] neg_lo:[0,0,1] neg_hi:[0,0,1]
	v_pk_fma_f16 v38, v38, 2.0, v18 op_sel_hi:[1,0,1] neg_lo:[0,0,1] neg_hi:[0,0,1]
	ds_write2_b32 v15, v34, v17 offset1:2
	ds_write2_b32 v24, v38, v18 offset1:2
	v_pk_add_f16 v15, v37, v19 neg_lo:[0,1] neg_hi:[0,1]
	v_pk_fma_f16 v17, v37, 2.0, v15 op_sel_hi:[1,0,1] neg_lo:[0,0,1] neg_hi:[0,0,1]
	ds_write2_b32 v33, v17, v15 offset1:2
	v_pk_mul_f16 v15, v22, v20 op_sel:[0,1]
	v_pk_fma_f16 v17, v22, v20, v15 op_sel:[0,0,1] op_sel_hi:[1,1,0]
	v_pk_fma_f16 v15, v22, v20, v15 op_sel:[0,0,1] op_sel_hi:[1,0,0] neg_lo:[1,0,0] neg_hi:[1,0,0]
	v_bfi_b32 v15, s4, v17, v15
	v_lshlrev_b32_e32 v24, 1, v11
	v_and_or_b32 v17, v24, s5, v21
	v_pk_add_f16 v15, v35, v15 neg_lo:[0,1] neg_hi:[0,1]
	v_lshl_add_u32 v17, v17, 2, v0
	v_pk_fma_f16 v18, v35, 2.0, v15 op_sel_hi:[1,0,1] neg_lo:[0,0,1] neg_hi:[0,0,1]
	ds_write2_b32 v17, v18, v15 offset1:2
	v_pk_mul_f16 v15, v22, v39 op_sel:[0,1]
	v_pk_fma_f16 v17, v22, v39, v15 op_sel:[0,0,1] op_sel_hi:[1,1,0]
	v_pk_fma_f16 v15, v22, v39, v15 op_sel:[0,0,1] op_sel_hi:[1,0,0] neg_lo:[1,0,0] neg_hi:[1,0,0]
	v_bfi_b32 v15, s4, v17, v15
	v_lshlrev_b32_e32 v22, 1, v9
	v_and_or_b32 v17, v22, s5, v21
	v_pk_add_f16 v15, v36, v15 neg_lo:[0,1] neg_hi:[0,1]
	v_lshl_add_u32 v17, v17, 2, v0
	v_pk_fma_f16 v18, v36, 2.0, v15 op_sel_hi:[1,0,1] neg_lo:[0,0,1] neg_hi:[0,0,1]
	ds_write2_b32 v17, v18, v15 offset1:2
	v_and_b32_e32 v15, 3, v5
	v_lshlrev_b32_e32 v17, 2, v15
	s_waitcnt lgkmcnt(0)
	s_barrier
	global_load_dword v21, v17, s[12:13] offset:8
	s_movk_i32 s5, 0x3f8
	v_and_or_b32 v17, v25, s0, v15
	v_and_or_b32 v18, v31, s1, v15
	;; [unrolled: 1-line block ×4, first 2 shown]
	v_lshl_add_u32 v33, v17, 2, v0
	v_lshl_add_u32 v34, v18, 2, v0
	;; [unrolled: 1-line block ×4, first 2 shown]
	ds_read2_b32 v[17:18], v23 offset0:56 offset1:144
	ds_read_b32 v37, v10
	ds_read_b32 v38, v28
	;; [unrolled: 1-line block ×5, first 2 shown]
	ds_read_b32 v42, v6 offset:3168
	ds_read2_b32 v[19:20], v26 offset0:104 offset1:192
	v_and_or_b32 v15, v22, s5, v15
	s_waitcnt vmcnt(0) lgkmcnt(0)
	s_barrier
	v_lshl_add_u32 v15, v15, 2, v0
	s_movk_i32 s0, 0xf0
	s_movk_i32 s1, 0x1f0
	;; [unrolled: 1-line block ×3, first 2 shown]
	v_pk_mul_f16 v43, v21, v17 op_sel:[0,1]
	v_pk_mul_f16 v44, v21, v18 op_sel:[0,1]
	;; [unrolled: 1-line block ×4, first 2 shown]
	v_pk_fma_f16 v48, v21, v17, v43 op_sel:[0,0,1] op_sel_hi:[1,1,0]
	v_pk_fma_f16 v17, v21, v17, v43 op_sel:[0,0,1] op_sel_hi:[1,0,0] neg_lo:[1,0,0] neg_hi:[1,0,0]
	v_pk_mul_f16 v47, v21, v42 op_sel:[0,1]
	v_pk_fma_f16 v43, v21, v18, v44 op_sel:[0,0,1] op_sel_hi:[1,1,0]
	v_pk_fma_f16 v18, v21, v18, v44 op_sel:[0,0,1] op_sel_hi:[1,0,0] neg_lo:[1,0,0] neg_hi:[1,0,0]
	v_pk_fma_f16 v44, v21, v19, v45 op_sel:[0,0,1] op_sel_hi:[1,1,0]
	v_pk_fma_f16 v19, v21, v19, v45 op_sel:[0,0,1] op_sel_hi:[1,0,0] neg_lo:[1,0,0] neg_hi:[1,0,0]
	;; [unrolled: 2-line block ×3, first 2 shown]
	v_bfi_b32 v17, s4, v48, v17
	v_pk_fma_f16 v46, v21, v42, v47 op_sel:[0,0,1] op_sel_hi:[1,1,0]
	v_pk_fma_f16 v21, v21, v42, v47 op_sel:[0,0,1] op_sel_hi:[1,0,0] neg_lo:[1,0,0] neg_hi:[1,0,0]
	v_bfi_b32 v18, s4, v43, v18
	v_bfi_b32 v19, s4, v44, v19
	;; [unrolled: 1-line block ×3, first 2 shown]
	v_pk_add_f16 v17, v37, v17 neg_lo:[0,1] neg_hi:[0,1]
	v_bfi_b32 v21, s4, v46, v21
	v_pk_add_f16 v18, v41, v18 neg_lo:[0,1] neg_hi:[0,1]
	v_pk_add_f16 v19, v40, v19 neg_lo:[0,1] neg_hi:[0,1]
	;; [unrolled: 1-line block ×3, first 2 shown]
	v_pk_fma_f16 v37, v37, 2.0, v17 op_sel_hi:[1,0,1] neg_lo:[0,0,1] neg_hi:[0,0,1]
	v_pk_fma_f16 v41, v41, 2.0, v18 op_sel_hi:[1,0,1] neg_lo:[0,0,1] neg_hi:[0,0,1]
	;; [unrolled: 1-line block ×4, first 2 shown]
	ds_write2_b32 v33, v37, v17 offset1:4
	ds_write2_b32 v34, v41, v18 offset1:4
	;; [unrolled: 1-line block ×4, first 2 shown]
	v_pk_add_f16 v17, v39, v21 neg_lo:[0,1] neg_hi:[0,1]
	v_pk_fma_f16 v18, v39, 2.0, v17 op_sel_hi:[1,0,1] neg_lo:[0,0,1] neg_hi:[0,0,1]
	ds_write2_b32 v15, v18, v17 offset1:4
	v_and_b32_e32 v15, 7, v5
	v_lshlrev_b32_e32 v17, 2, v15
	s_waitcnt lgkmcnt(0)
	s_barrier
	global_load_dword v21, v17, s[12:13] offset:24
	v_and_or_b32 v17, v25, s0, v15
	v_and_or_b32 v18, v31, s1, v15
	;; [unrolled: 1-line block ×5, first 2 shown]
	v_lshl_add_u32 v31, v17, 2, v0
	v_lshl_add_u32 v34, v18, 2, v0
	;; [unrolled: 1-line block ×5, first 2 shown]
	ds_read2_b32 v[17:18], v26 offset0:104 offset1:192
	ds_read2_b32 v[19:20], v23 offset0:56 offset1:144
	ds_read_b32 v15, v28
	ds_read_b32 v22, v29
	;; [unrolled: 1-line block ×4, first 2 shown]
	ds_read_b32 v23, v6 offset:3168
	ds_read_b32 v33, v10
	v_cmp_gt_u32_e64 s[0:1], s6, v5
	s_waitcnt vmcnt(0) lgkmcnt(0)
	s_barrier
	v_pk_mul_f16 v25, v21, v18 op_sel:[0,1]
	v_pk_mul_f16 v35, v21, v17 op_sel:[0,1]
	;; [unrolled: 1-line block ×5, first 2 shown]
	v_pk_fma_f16 v42, v21, v18, v25 op_sel:[0,0,1] op_sel_hi:[1,1,0]
	v_pk_fma_f16 v18, v21, v18, v25 op_sel:[0,0,1] op_sel_hi:[1,0,0] neg_lo:[1,0,0] neg_hi:[1,0,0]
	v_pk_fma_f16 v25, v21, v17, v35 op_sel:[0,0,1] op_sel_hi:[1,1,0]
	v_pk_fma_f16 v17, v21, v17, v35 op_sel:[0,0,1] op_sel_hi:[1,0,0] neg_lo:[1,0,0] neg_hi:[1,0,0]
	;; [unrolled: 2-line block ×5, first 2 shown]
	v_bfi_b32 v21, s4, v40, v21
	v_bfi_b32 v18, s4, v42, v18
	;; [unrolled: 1-line block ×5, first 2 shown]
	v_pk_add_f16 v25, v22, v21 neg_lo:[0,1] neg_hi:[0,1]
	v_pk_add_f16 v17, v15, v18 neg_lo:[0,1] neg_hi:[0,1]
	;; [unrolled: 1-line block ×5, first 2 shown]
	v_pk_fma_f16 v18, v22, 2.0, v25 op_sel_hi:[1,0,1] neg_lo:[0,0,1] neg_hi:[0,0,1]
	v_pk_fma_f16 v20, v15, 2.0, v17 op_sel_hi:[1,0,1] neg_lo:[0,0,1] neg_hi:[0,0,1]
	;; [unrolled: 1-line block ×5, first 2 shown]
	v_lshrrev_b32_e32 v32, 16, v25
	v_lshrrev_b32_e32 v35, 16, v17
	v_lshrrev_b32_e32 v33, 16, v19
	v_lshrrev_b32_e32 v36, 16, v23
	ds_write2_b32 v31, v15, v21 offset1:8
	ds_write2_b32 v34, v22, v23 offset1:8
	;; [unrolled: 1-line block ×5, first 2 shown]
	v_lshrrev_b32_e32 v34, 16, v18
	v_lshrrev_b32_e32 v38, 16, v20
	;; [unrolled: 1-line block ×6, first 2 shown]
	s_waitcnt lgkmcnt(0)
	s_barrier
	s_waitcnt lgkmcnt(0)
                                        ; implicit-def: $vgpr41
	s_and_saveexec_b64 s[4:5], s[0:1]
	s_cbranch_execz .LBB0_15
; %bb.14:
	v_add_u32_e32 v19, 0xa00, v6
	ds_read_b32 v15, v10
	ds_read2_b32 v[21:22], v6 offset0:80 offset1:160
	ds_read2_b32 v[17:18], v26 offset0:48 offset1:128
	;; [unrolled: 1-line block ×3, first 2 shown]
	v_add_u32_e32 v19, 0x200, v6
	ds_read2_b32 v[23:24], v19 offset0:112 offset1:192
	ds_read2_b32 v[19:20], v30 offset0:144 offset1:224
	s_waitcnt lgkmcnt(5)
	v_lshrrev_b32_e32 v31, 16, v15
	s_waitcnt lgkmcnt(3)
	v_lshrrev_b32_e32 v34, 16, v18
	;; [unrolled: 2-line block ×3, first 2 shown]
	v_lshrrev_b32_e32 v41, 16, v26
	v_lshrrev_b32_e32 v40, 16, v21
	;; [unrolled: 1-line block ×3, first 2 shown]
	s_waitcnt lgkmcnt(1)
	v_lshrrev_b32_e32 v36, 16, v23
	v_lshrrev_b32_e32 v37, 16, v24
	s_waitcnt lgkmcnt(0)
	v_lshrrev_b32_e32 v33, 16, v19
	v_lshrrev_b32_e32 v38, 16, v20
	;; [unrolled: 1-line block ×3, first 2 shown]
.LBB0_15:
	s_or_b64 exec, exec, s[4:5]
	s_barrier
	s_and_saveexec_b64 s[4:5], s[0:1]
	s_cbranch_execz .LBB0_17
; %bb.16:
	v_and_b32_e32 v30, 15, v5
	v_mul_u32_u24_e32 v42, 10, v30
	v_lshlrev_b32_e32 v52, 2, v42
	global_load_dwordx4 v[42:45], v52, s[12:13] offset:56
	global_load_dwordx2 v[50:51], v52, s[12:13] offset:88
	global_load_dwordx4 v[46:49], v52, s[12:13] offset:72
	s_movk_i32 s0, 0x36a6
	s_mov_b32 s1, 0xb93d
	s_mov_b32 s6, 0xbbad
	;; [unrolled: 1-line block ×3, first 2 shown]
	s_movk_i32 s8, 0x3abb
	s_movk_i32 s9, 0x3853
	;; [unrolled: 1-line block ×3, first 2 shown]
	s_mov_b32 s15, 0xbbeb
	s_mov_b32 s16, 0xb482
	s_waitcnt vmcnt(2)
	v_mul_f16_sdwa v52, v40, v42 dst_sel:DWORD dst_unused:UNUSED_PAD src0_sel:DWORD src1_sel:WORD_1
	s_waitcnt vmcnt(1)
	v_mul_f16_sdwa v53, v41, v51 dst_sel:DWORD dst_unused:UNUSED_PAD src0_sel:DWORD src1_sel:WORD_1
	v_mul_f16_sdwa v54, v26, v51 dst_sel:DWORD dst_unused:UNUSED_PAD src0_sel:DWORD src1_sel:WORD_1
	;; [unrolled: 1-line block ×7, first 2 shown]
	s_waitcnt vmcnt(0)
	v_mul_f16_sdwa v61, v34, v49 dst_sel:DWORD dst_unused:UNUSED_PAD src0_sel:DWORD src1_sel:WORD_1
	v_mul_f16_sdwa v62, v18, v49 dst_sel:DWORD dst_unused:UNUSED_PAD src0_sel:DWORD src1_sel:WORD_1
	v_fma_f16 v26, v26, v51, v53
	v_fma_f16 v41, v41, v51, -v54
	v_fma_f16 v21, v21, v42, v52
	v_fma_f16 v40, v40, v42, -v55
	v_mul_f16_sdwa v60, v36, v44 dst_sel:DWORD dst_unused:UNUSED_PAD src0_sel:DWORD src1_sel:WORD_1
	v_mul_f16_sdwa v63, v23, v44 dst_sel:DWORD dst_unused:UNUSED_PAD src0_sel:DWORD src1_sel:WORD_1
	;; [unrolled: 1-line block ×4, first 2 shown]
	v_fma_f16 v25, v25, v50, v57
	v_fma_f16 v32, v32, v50, -v58
	v_fma_f16 v22, v22, v43, v56
	v_fma_f16 v39, v39, v43, -v59
	v_fma_f16 v34, v34, v49, -v62
	v_fma_f16 v18, v18, v49, v61
	v_sub_f16_e32 v42, v21, v26
	v_sub_f16_e32 v49, v40, v41
	v_mul_f16_sdwa v64, v37, v45 dst_sel:DWORD dst_unused:UNUSED_PAD src0_sel:DWORD src1_sel:WORD_1
	v_mul_f16_sdwa v67, v24, v45 dst_sel:DWORD dst_unused:UNUSED_PAD src0_sel:DWORD src1_sel:WORD_1
	;; [unrolled: 1-line block ×5, first 2 shown]
	v_fma_f16 v36, v36, v44, -v63
	v_fma_f16 v23, v23, v44, v60
	v_fma_f16 v17, v17, v48, v65
	v_fma_f16 v35, v35, v48, -v66
	v_add_f16_e32 v43, v40, v41
	v_sub_f16_e32 v44, v22, v25
	v_add_f16_e32 v48, v21, v26
	v_sub_f16_e32 v51, v39, v32
	v_mul_f16_e32 v60, 0xbb47, v42
	v_mul_f16_e32 v63, 0xbb47, v49
	v_mul_f16_sdwa v69, v38, v47 dst_sel:DWORD dst_unused:UNUSED_PAD src0_sel:DWORD src1_sel:WORD_1
	v_fma_f16 v24, v24, v45, v64
	v_fma_f16 v37, v37, v45, -v67
	v_fma_f16 v19, v19, v46, v68
	v_fma_f16 v38, v38, v47, -v70
	v_fma_f16 v33, v33, v46, -v71
	v_add_f16_e32 v45, v39, v32
	v_sub_f16_e32 v46, v23, v18
	v_add_f16_e32 v50, v22, v25
	v_sub_f16_e32 v53, v36, v34
	v_mul_f16_e32 v61, 0xba0c, v44
	v_mul_f16_e32 v64, 0xba0c, v51
	v_fma_f16 v68, v43, s0, v60
	v_fma_f16 v70, v48, s0, -v63
	v_fma_f16 v20, v20, v47, v69
	v_add_f16_e32 v47, v36, v34
	v_add_f16_e32 v52, v23, v18
	v_sub_f16_e32 v59, v37, v35
	v_mul_f16_e32 v62, 0x3482, v46
	v_mul_f16_e32 v65, 0x3482, v53
	v_fma_f16 v69, v45, s1, v61
	v_fma_f16 v71, v50, s1, -v64
	v_add_f16_e32 v68, v31, v68
	v_add_f16_e32 v70, v15, v70
	v_sub_f16_e32 v54, v24, v17
	v_add_f16_e32 v58, v24, v17
	v_fma_f16 v72, v47, s6, v62
	v_fma_f16 v73, v52, s6, -v65
	v_add_f16_e32 v68, v69, v68
	v_add_f16_e32 v69, v71, v70
	v_mul_f16_e32 v70, 0x3beb, v59
	v_add_f16_e32 v55, v37, v35
	v_mul_f16_e32 v66, 0x3beb, v54
	v_add_f16_e32 v68, v72, v68
	v_add_f16_e32 v69, v73, v69
	v_fma_f16 v71, v58, s7, -v70
	v_sub_f16_e32 v72, v33, v38
	v_sub_f16_e32 v56, v19, v20
	v_fma_f16 v74, v55, s7, v66
	v_add_f16_e32 v69, v71, v69
	v_add_f16_e32 v71, v19, v20
	v_mul_f16_e32 v73, 0x3853, v72
	v_add_f16_e32 v57, v33, v38
	v_mul_f16_e32 v67, 0x3853, v56
	v_add_f16_e32 v68, v74, v68
	v_fma_f16 v74, v71, s8, -v73
	v_fma_f16 v75, v57, s8, v67
	v_add_f16_e32 v69, v74, v69
	v_mul_f16_e32 v74, 0xbbeb, v42
	v_add_f16_e32 v68, v75, v68
	v_fma_f16 v75, v43, s7, v74
	v_mul_f16_e32 v76, 0x3482, v44
	v_add_f16_e32 v75, v31, v75
	v_fma_f16 v77, v45, s6, v76
	v_add_f16_e32 v75, v77, v75
	v_mul_f16_e32 v77, 0x3b47, v46
	v_fma_f16 v78, v47, s0, v77
	v_add_f16_e32 v75, v78, v75
	v_mul_f16_e32 v78, 0xb853, v54
	;; [unrolled: 3-line block ×4, first 2 shown]
	v_fma_f16 v81, v48, s7, -v80
	v_mul_f16_e32 v82, 0x3482, v51
	v_add_f16_e32 v81, v15, v81
	v_fma_f16 v83, v50, s6, -v82
	v_add_f16_e32 v81, v83, v81
	v_mul_f16_e32 v83, 0x3b47, v53
	v_fma_f16 v84, v52, s0, -v83
	v_add_f16_e32 v81, v84, v81
	v_mul_f16_e32 v84, 0xb853, v59
	;; [unrolled: 3-line block ×4, first 2 shown]
	v_fma_f16 v87, v43, s1, v86
	v_mul_f16_e32 v88, 0x3beb, v44
	v_add_f16_e32 v87, v31, v87
	v_fma_f16 v89, v45, s7, v88
	v_add_f16_e32 v87, v89, v87
	v_mul_f16_e32 v89, 0xb853, v46
	v_fma_f16 v90, v47, s8, v89
	v_add_f16_e32 v87, v90, v87
	v_mul_f16_e32 v90, 0xb482, v54
	;; [unrolled: 3-line block ×4, first 2 shown]
	v_fma_f16 v93, v48, s1, -v92
	v_mul_f16_e32 v94, 0x3beb, v51
	v_add_f16_e32 v93, v15, v93
	v_fma_f16 v95, v50, s7, -v94
	v_add_f16_e32 v93, v95, v93
	v_mul_f16_e32 v95, 0xb853, v53
	v_fma_f16 v96, v52, s8, -v95
	v_fma_f16 v60, v43, s0, -v60
	v_add_f16_e32 v93, v96, v93
	v_mul_f16_e32 v96, 0xb482, v59
	v_add_f16_e32 v60, v31, v60
	v_fma_f16 v61, v45, s1, -v61
	v_fma_f16 v97, v58, s6, -v96
	v_add_f16_e32 v60, v61, v60
	v_fma_f16 v61, v47, s6, -v62
	v_add_f16_e32 v93, v97, v93
	v_mul_f16_e32 v97, 0x3b47, v72
	v_add_f16_e32 v60, v61, v60
	v_fma_f16 v61, v55, s7, -v66
	v_fma_f16 v98, v71, s0, -v97
	v_add_f16_e32 v60, v61, v60
	v_fma_f16 v61, v57, s8, -v67
	v_add_f16_e32 v93, v98, v93
	v_mul_f16_e32 v98, 0xb482, v42
	v_add_f16_e32 v60, v61, v60
	v_fma_f16 v61, v48, s0, v63
	v_fma_f16 v99, v43, s6, v98
	v_mul_f16_e32 v100, 0x3853, v44
	v_add_f16_e32 v61, v15, v61
	v_fma_f16 v62, v50, s1, v64
	v_add_f16_e32 v99, v31, v99
	v_fma_f16 v101, v45, s8, v100
	;; [unrolled: 2-line block ×3, first 2 shown]
	v_add_f16_e32 v99, v101, v99
	v_mul_f16_e32 v101, 0xba0c, v46
	v_add_f16_e32 v61, v62, v61
	v_fma_f16 v62, v58, s7, v70
	v_fma_f16 v102, v47, s1, v101
	v_fma_f16 v98, v43, s6, -v98
	v_fma_f16 v86, v43, s1, -v86
	;; [unrolled: 1-line block ×3, first 2 shown]
	v_add_f16_e32 v61, v62, v61
	v_fma_f16 v62, v71, s8, v73
	v_mul_f16_e32 v43, 0x3abb, v43
	v_add_f16_e32 v21, v15, v21
	v_add_f16_e32 v99, v102, v99
	v_mul_f16_e32 v102, 0x3b47, v54
	v_add_f16_e32 v98, v31, v98
	v_fma_f16 v100, v45, s8, -v100
	v_add_f16_e32 v86, v31, v86
	v_fma_f16 v88, v45, s7, -v88
	;; [unrolled: 2-line block ×3, first 2 shown]
	v_add_f16_e32 v61, v62, v61
	v_fma_f16 v62, v42, s9, v43
	v_mul_f16_e32 v45, 0x36a6, v45
	v_add_f16_e32 v21, v21, v22
	v_fma_f16 v103, v55, s0, v102
	v_add_f16_e32 v98, v100, v98
	v_fma_f16 v100, v47, s1, -v101
	v_add_f16_e32 v86, v88, v86
	v_fma_f16 v88, v47, s8, -v89
	;; [unrolled: 2-line block ×3, first 2 shown]
	v_add_f16_e32 v62, v31, v62
	v_fma_f16 v63, v44, s14, v45
	s_movk_i32 s9, 0x3beb
	v_mul_f16_e32 v47, 0xb08e, v47
	v_add_f16_e32 v21, v21, v23
	v_add_f16_e32 v99, v103, v99
	v_mul_f16_e32 v103, 0xbbeb, v56
	v_add_f16_e32 v98, v100, v98
	v_fma_f16 v100, v55, s0, -v102
	v_add_f16_e32 v86, v88, v86
	v_fma_f16 v88, v55, s6, -v90
	;; [unrolled: 2-line block ×3, first 2 shown]
	v_add_f16_e32 v62, v63, v62
	v_fma_f16 v63, v46, s9, v47
	v_mul_f16_e32 v55, 0xb93d, v55
	s_movk_i32 s9, 0x3a0c
	v_add_f16_e32 v21, v21, v24
	v_fma_f16 v104, v57, s7, v103
	v_add_f16_e32 v98, v100, v98
	v_fma_f16 v100, v57, s7, -v103
	v_add_f16_e32 v86, v88, v86
	v_fma_f16 v88, v57, s0, -v91
	;; [unrolled: 2-line block ×3, first 2 shown]
	v_add_f16_e32 v62, v63, v62
	v_fma_f16 v63, v54, s9, v55
	s_movk_i32 s9, 0x3482
	v_mul_f16_e32 v57, 0xbbad, v57
	v_add_f16_e32 v19, v21, v19
	v_add_f16_e32 v62, v63, v62
	v_fma_f16 v63, v56, s9, v57
	v_add_f16_e32 v19, v19, v20
	s_mov_b32 s9, 0xb853
	v_add_f16_e32 v17, v19, v17
	v_fma_f16 v19, v42, s9, v43
	s_mov_b32 s9, 0xbb47
	v_add_f16_e32 v99, v104, v99
	v_mul_f16_e32 v104, 0xb482, v49
	v_add_f16_e32 v19, v31, v19
	v_fma_f16 v20, v44, s9, v45
	v_fma_f16 v105, v48, s6, -v104
	v_mul_f16_e32 v106, 0x3853, v51
	s_mov_b32 s14, 0xba0c
	v_add_f16_e32 v19, v20, v19
	v_fma_f16 v20, v46, s15, v47
	v_add_f16_e32 v105, v15, v105
	v_fma_f16 v107, v50, s8, -v106
	v_mul_f16_e32 v49, 0xb853, v49
	v_add_f16_e32 v19, v20, v19
	v_fma_f16 v20, v54, s14, v55
	v_add_f16_e32 v105, v107, v105
	v_mul_f16_e32 v107, 0xba0c, v53
	v_add_f16_e32 v62, v63, v62
	v_fma_f16 v63, v48, s8, v49
	v_mul_f16_e32 v51, 0xbb47, v51
	v_add_f16_e32 v17, v17, v18
	v_add_f16_e32 v18, v31, v40
	;; [unrolled: 1-line block ×3, first 2 shown]
	v_fma_f16 v20, v56, s16, v57
	v_fma_f16 v108, v52, s1, -v107
	v_add_f16_e32 v98, v100, v98
	v_fma_f16 v100, v48, s6, v104
	v_add_f16_e32 v86, v88, v86
	v_fma_f16 v88, v48, s1, v92
	v_add_f16_e32 v74, v76, v74
	v_fma_f16 v76, v48, s7, v80
	v_add_f16_e32 v63, v15, v63
	v_fma_f16 v64, v50, s0, v51
	v_mul_f16_e32 v53, 0xbbeb, v53
	v_add_f16_e32 v18, v18, v39
	v_add_f16_e32 v19, v20, v19
	v_fma_f16 v20, v48, s8, -v49
	v_add_f16_e32 v105, v108, v105
	v_mul_f16_e32 v108, 0x3b47, v59
	v_add_f16_e32 v100, v15, v100
	v_add_f16_e32 v88, v15, v88
	;; [unrolled: 1-line block ×4, first 2 shown]
	v_fma_f16 v64, v52, s7, v53
	v_mul_f16_e32 v59, 0xba0c, v59
	v_add_f16_e32 v18, v18, v36
	v_add_f16_e32 v15, v15, v20
	v_fma_f16 v20, v50, s0, -v51
	v_add_f16_e32 v63, v64, v63
	v_fma_f16 v64, v58, s1, v59
	v_add_f16_e32 v18, v18, v37
	v_add_f16_e32 v15, v20, v15
	v_fma_f16 v20, v52, s7, -v53
	v_add_f16_e32 v63, v64, v63
	v_mul_f16_e32 v64, 0xb482, v72
	v_add_f16_e32 v18, v18, v33
	v_add_f16_e32 v15, v20, v15
	v_fma_f16 v20, v58, s1, -v59
	v_add_f16_e32 v18, v18, v38
	v_add_f16_e32 v15, v20, v15
	v_fma_f16 v20, v71, s6, -v64
	v_fma_f16 v77, v50, s6, v82
	v_add_f16_e32 v18, v18, v35
	v_add_f16_e32 v15, v20, v15
	v_lshrrev_b32_e32 v20, 4, v5
	v_fma_f16 v101, v50, s8, v106
	v_fma_f16 v89, v50, s7, v94
	v_add_f16_e32 v76, v77, v76
	v_fma_f16 v77, v52, s0, v83
	v_add_f16_e32 v18, v18, v34
	v_mul_u32_u24_e32 v20, 0xb0, v20
	v_fma_f16 v109, v58, s0, -v108
	v_add_f16_e32 v100, v101, v100
	v_fma_f16 v101, v52, s1, v107
	v_add_f16_e32 v88, v89, v88
	v_fma_f16 v89, v52, s8, v95
	;; [unrolled: 2-line block ×3, first 2 shown]
	v_fma_f16 v65, v71, s6, v64
	v_add_f16_e32 v17, v17, v25
	v_add_f16_e32 v18, v18, v32
	v_or_b32_e32 v20, v20, v30
	v_add_f16_e32 v105, v109, v105
	v_mul_f16_e32 v109, 0xbbeb, v72
	v_add_f16_e32 v100, v101, v100
	v_fma_f16 v101, v58, s0, v108
	v_add_f16_e32 v88, v89, v88
	v_fma_f16 v89, v58, s6, v96
	;; [unrolled: 2-line block ×3, first 2 shown]
	v_add_f16_e32 v63, v65, v63
	v_add_f16_e32 v17, v17, v26
	;; [unrolled: 1-line block ×3, first 2 shown]
	v_lshlrev_b32_e32 v20, 2, v20
	v_add_f16_e32 v100, v101, v100
	v_fma_f16 v101, v71, s7, v109
	v_add_f16_e32 v88, v89, v88
	v_fma_f16 v89, v71, s0, v97
	v_add_f16_e32 v76, v77, v76
	v_add3_u32 v12, 0, v20, v12
	v_pack_b32_f16 v17, v17, v18
	v_pack_b32_f16 v18, v63, v62
	v_fma_f16 v110, v71, s7, -v109
	v_add_f16_e32 v100, v101, v100
	v_add_f16_e32 v88, v89, v88
	ds_write2_b32 v12, v17, v18 offset1:16
	v_pack_b32_f16 v17, v61, v60
	v_pack_b32_f16 v18, v76, v74
	v_add_f16_e32 v105, v110, v105
	ds_write2_b32 v12, v17, v18 offset0:32 offset1:48
	v_pack_b32_f16 v17, v88, v86
	v_pack_b32_f16 v18, v100, v98
	ds_write2_b32 v12, v17, v18 offset0:64 offset1:80
	v_pack_b32_f16 v17, v105, v99
	v_pack_b32_f16 v18, v93, v87
	;; [unrolled: 3-line block ×3, first 2 shown]
	v_pack_b32_f16 v15, v15, v19
	ds_write2_b32 v12, v17, v18 offset0:128 offset1:144
	ds_write_b32 v12, v15 offset:640
.LBB0_17:
	s_or_b64 exec, exec, s[4:5]
	v_mov_b32_e32 v15, 0
	v_lshlrev_b64 v[17:18], 2, v[14:15]
	v_mov_b32_e32 v12, s13
	v_add_co_u32_e64 v17, s[0:1], s12, v17
	v_addc_co_u32_e64 v18, s[0:1], v12, v18, s[0:1]
	s_waitcnt lgkmcnt(0)
	s_barrier
	global_load_dwordx4 v[18:21], v[17:18], off offset:696
	v_mov_b32_e32 v17, v15
	v_lshlrev_b64 v[16:17], 2, v[16:17]
	v_add_u32_e32 v26, 0x800, v6
	v_add_co_u32_e64 v16, s[0:1], s12, v16
	v_addc_co_u32_e64 v17, s[0:1], v12, v17, s[0:1]
	global_load_dwordx4 v[22:25], v[16:17], off offset:696
	v_add_u32_e32 v16, 0x600, v6
	ds_read_b32 v12, v10
	ds_read_b32 v29, v29
	;; [unrolled: 1-line block ×5, first 2 shown]
	ds_read_b32 v32, v6 offset:3168
	ds_read2_b32 v[16:17], v16 offset0:56 offset1:144
	ds_read2_b32 v[26:27], v26 offset0:104 offset1:192
	s_waitcnt lgkmcnt(6)
	v_lshrrev_b32_e32 v37, 16, v29
	s_waitcnt lgkmcnt(4)
	v_lshrrev_b32_e32 v36, 16, v30
	v_lshrrev_b32_e32 v38, 16, v28
	s_waitcnt lgkmcnt(1)
	v_lshrrev_b32_e32 v41, 16, v17
	s_waitcnt lgkmcnt(0)
	v_lshrrev_b32_e32 v42, 16, v27
	v_lshrrev_b32_e32 v39, 16, v16
	;; [unrolled: 1-line block ×3, first 2 shown]
	s_mov_b32 s0, 0xbb9c
	s_movk_i32 s5, 0x3b9c
	s_mov_b32 s1, 0xb8b4
	s_movk_i32 s6, 0x38b4
	v_lshrrev_b32_e32 v35, 16, v32
	s_movk_i32 s4, 0x34f2
	v_lshrrev_b32_e32 v33, 16, v12
	v_lshrrev_b32_e32 v34, 16, v31
	s_waitcnt vmcnt(0)
	s_barrier
	v_mul_f16_sdwa v43, v18, v36 dst_sel:DWORD dst_unused:UNUSED_PAD src0_sel:WORD_1 src1_sel:DWORD
	v_mul_f16_sdwa v44, v18, v30 dst_sel:DWORD dst_unused:UNUSED_PAD src0_sel:WORD_1 src1_sel:DWORD
	;; [unrolled: 1-line block ×8, first 2 shown]
	v_fma_f16 v30, v18, v30, v43
	v_fma_f16 v18, v18, v36, -v44
	v_fma_f16 v29, v19, v29, v45
	v_fma_f16 v17, v20, v17, v47
	v_mul_f16_sdwa v36, v22, v38 dst_sel:DWORD dst_unused:UNUSED_PAD src0_sel:WORD_1 src1_sel:DWORD
	v_fma_f16 v19, v19, v37, -v46
	v_fma_f16 v20, v20, v41, -v48
	v_fma_f16 v27, v21, v27, v49
	v_fma_f16 v21, v21, v42, -v50
	v_mul_f16_sdwa v37, v22, v28 dst_sel:DWORD dst_unused:UNUSED_PAD src0_sel:WORD_1 src1_sel:DWORD
	v_mul_f16_sdwa v41, v39, v23 dst_sel:DWORD dst_unused:UNUSED_PAD src0_sel:DWORD src1_sel:WORD_1
	v_mul_f16_sdwa v42, v16, v23 dst_sel:DWORD dst_unused:UNUSED_PAD src0_sel:DWORD src1_sel:WORD_1
	;; [unrolled: 1-line block ×4, first 2 shown]
	v_fma_f16 v28, v22, v28, v36
	v_add_f16_e32 v36, v29, v17
	v_fma_f16 v22, v22, v38, -v37
	v_fma_f16 v16, v16, v23, v41
	v_fma_f16 v23, v39, v23, -v42
	v_fma_f16 v26, v26, v24, v43
	v_fma_f16 v24, v40, v24, -v44
	v_sub_f16_e32 v37, v18, v21
	v_sub_f16_e32 v39, v30, v29
	;; [unrolled: 1-line block ×3, first 2 shown]
	v_fma_f16 v36, v36, -0.5, v12
	v_sub_f16_e32 v38, v19, v20
	v_add_f16_e32 v39, v39, v40
	v_fma_f16 v40, v37, s0, v36
	v_fma_f16 v36, v37, s5, v36
	v_mul_f16_sdwa v45, v35, v25 dst_sel:DWORD dst_unused:UNUSED_PAD src0_sel:DWORD src1_sel:WORD_1
	v_mul_f16_sdwa v46, v32, v25 dst_sel:DWORD dst_unused:UNUSED_PAD src0_sel:DWORD src1_sel:WORD_1
	v_fma_f16 v40, v38, s1, v40
	v_fma_f16 v36, v38, s6, v36
	;; [unrolled: 1-line block ×3, first 2 shown]
	v_fma_f16 v25, v35, v25, -v46
	v_add_f16_e32 v35, v12, v30
	v_fma_f16 v40, v39, s4, v40
	v_fma_f16 v36, v39, s4, v36
	v_add_f16_e32 v39, v30, v27
	v_add_f16_e32 v35, v35, v29
	v_fma_f16 v12, v39, -0.5, v12
	v_add_f16_e32 v35, v35, v17
	v_fma_f16 v39, v38, s5, v12
	v_fma_f16 v12, v38, s0, v12
	v_add_f16_e32 v38, v19, v20
	v_add_f16_e32 v35, v35, v27
	v_sub_f16_e32 v41, v29, v30
	v_sub_f16_e32 v42, v17, v27
	v_fma_f16 v38, v38, -0.5, v33
	v_sub_f16_e32 v27, v30, v27
	v_fma_f16 v39, v37, s1, v39
	v_add_f16_e32 v41, v41, v42
	v_fma_f16 v12, v37, s6, v12
	v_fma_f16 v30, v27, s5, v38
	v_sub_f16_e32 v17, v29, v17
	v_fma_f16 v39, v41, s4, v39
	v_fma_f16 v12, v41, s4, v12
	;; [unrolled: 1-line block ×3, first 2 shown]
	v_sub_f16_e32 v30, v18, v19
	v_sub_f16_e32 v41, v21, v20
	v_fma_f16 v38, v27, s0, v38
	v_add_f16_e32 v30, v30, v41
	v_fma_f16 v38, v17, s1, v38
	v_add_f16_e32 v37, v33, v18
	v_fma_f16 v29, v30, s4, v29
	v_fma_f16 v30, v30, s4, v38
	v_add_f16_e32 v38, v18, v21
	v_add_f16_e32 v37, v37, v19
	v_fma_f16 v33, v38, -0.5, v33
	v_add_f16_e32 v37, v37, v20
	v_fma_f16 v38, v17, s0, v33
	v_sub_f16_e32 v18, v19, v18
	v_sub_f16_e32 v19, v20, v21
	v_add_f16_e32 v20, v16, v26
	v_add_f16_e32 v37, v37, v21
	v_fma_f16 v38, v27, s6, v38
	v_add_f16_e32 v18, v18, v19
	v_fma_f16 v17, v17, s5, v33
	v_fma_f16 v20, v20, -0.5, v31
	v_sub_f16_e32 v21, v22, v25
	v_fma_f16 v19, v18, s4, v38
	v_fma_f16 v17, v27, s1, v17
	;; [unrolled: 1-line block ×3, first 2 shown]
	v_sub_f16_e32 v33, v23, v24
	v_sub_f16_e32 v38, v28, v16
	;; [unrolled: 1-line block ×3, first 2 shown]
	v_fma_f16 v20, v21, s5, v20
	v_fma_f16 v27, v33, s1, v27
	v_add_f16_e32 v38, v38, v41
	v_fma_f16 v20, v33, s6, v20
	v_fma_f16 v27, v38, s4, v27
	;; [unrolled: 1-line block ×3, first 2 shown]
	v_add_f16_e32 v38, v28, v32
	v_fma_f16 v17, v18, s4, v17
	v_add_f16_e32 v18, v31, v28
	v_fma_f16 v31, v38, -0.5, v31
	v_add_f16_e32 v18, v18, v16
	v_fma_f16 v38, v33, s5, v31
	v_fma_f16 v31, v33, s0, v31
	v_add_f16_e32 v33, v23, v24
	v_add_f16_e32 v18, v18, v26
	v_sub_f16_e32 v41, v16, v28
	v_sub_f16_e32 v42, v26, v32
	v_fma_f16 v33, v33, -0.5, v34
	v_sub_f16_e32 v28, v28, v32
	v_add_f16_e32 v18, v18, v32
	v_fma_f16 v38, v21, s1, v38
	v_add_f16_e32 v41, v41, v42
	v_fma_f16 v21, v21, s6, v31
	v_fma_f16 v32, v28, s5, v33
	v_sub_f16_e32 v16, v16, v26
	v_fma_f16 v38, v41, s4, v38
	v_fma_f16 v21, v41, s4, v21
	;; [unrolled: 1-line block ×3, first 2 shown]
	v_sub_f16_e32 v32, v22, v23
	v_sub_f16_e32 v41, v25, v24
	v_fma_f16 v33, v28, s0, v33
	v_add_f16_e32 v32, v32, v41
	v_fma_f16 v33, v16, s1, v33
	v_fma_f16 v26, v32, s4, v26
	;; [unrolled: 1-line block ×3, first 2 shown]
	v_add_f16_e32 v33, v22, v25
	v_add_f16_e32 v31, v34, v22
	v_fma_f16 v33, v33, -0.5, v34
	v_add_f16_e32 v31, v31, v23
	v_fma_f16 v34, v16, s0, v33
	v_sub_f16_e32 v22, v23, v22
	v_sub_f16_e32 v23, v24, v25
	v_fma_f16 v16, v16, s5, v33
	v_add_f16_e32 v31, v31, v24
	v_fma_f16 v34, v28, s6, v34
	v_add_f16_e32 v22, v22, v23
	v_fma_f16 v16, v28, s1, v16
	v_pack_b32_f16 v19, v39, v19
	v_pack_b32_f16 v12, v12, v17
	v_add_u32_e32 v17, 0x500, v6
	v_add_f16_e32 v31, v31, v25
	v_fma_f16 v23, v22, s4, v34
	v_fma_f16 v16, v22, s4, v16
	v_pack_b32_f16 v22, v35, v37
	v_pack_b32_f16 v24, v40, v29
	ds_write2_b32 v17, v19, v12 offset0:32 offset1:208
	v_pack_b32_f16 v12, v36, v30
	ds_write2_b32 v6, v22, v24 offset1:176
	ds_write_b32 v6, v12 offset:2816
	v_pack_b32_f16 v6, v18, v31
	v_pack_b32_f16 v12, v27, v26
	ds_write2_b32 v8, v6, v12 offset1:176
	v_pack_b32_f16 v6, v38, v23
	v_pack_b32_f16 v12, v21, v16
	v_add_u32_e32 v16, 0x500, v8
	ds_write2_b32 v16, v6, v12 offset0:32 offset1:208
	v_pack_b32_f16 v6, v20, v32
	ds_write_b32 v8, v6 offset:2816
	s_waitcnt lgkmcnt(0)
	s_barrier
	ds_read_b32 v8, v10
	v_sub_u32_e32 v16, v0, v14
	v_cmp_ne_u32_e64 s[0:1], 0, v5
                                        ; implicit-def: $vgpr17
                                        ; implicit-def: $vgpr6
                                        ; implicit-def: $vgpr18
	s_and_saveexec_b64 s[4:5], s[0:1]
	s_xor_b64 s[4:5], exec, s[4:5]
	s_cbranch_execz .LBB0_19
; %bb.18:
	v_mov_b32_e32 v6, v15
	v_lshlrev_b64 v[14:15], 2, v[5:6]
	v_mov_b32_e32 v6, s13
	v_add_co_u32_e64 v14, s[0:1], s12, v14
	v_addc_co_u32_e64 v15, s[0:1], v6, v15, s[0:1]
	global_load_dword v6, v[14:15], off offset:3512
	ds_read_b32 v12, v16 offset:3520
	s_mov_b32 s0, 0xffff
	s_waitcnt lgkmcnt(0)
	v_pk_add_f16 v14, v8, v12 neg_lo:[0,1] neg_hi:[0,1]
	v_pk_add_f16 v8, v12, v8
	v_bfi_b32 v12, s0, v14, v8
	v_pk_mul_f16 v12, v12, 0.5 op_sel_hi:[1,0]
	v_bfi_b32 v8, s0, v8, v14
	v_pk_mul_f16 v14, v8, 0.5 op_sel_hi:[1,0]
	s_waitcnt vmcnt(0)
	v_pk_mul_f16 v15, v6, v12 op_sel:[1,0]
	v_pk_mul_f16 v12, v6, v12 op_sel_hi:[0,1]
	v_pk_fma_f16 v6, v8, 0.5, v15 op_sel_hi:[1,0,1]
	v_sub_f16_e32 v8, v14, v15
	v_sub_f16_sdwa v14, v15, v14 dst_sel:DWORD dst_unused:UNUSED_PAD src0_sel:WORD_1 src1_sel:WORD_1
	v_pk_add_f16 v15, v6, v12 op_sel:[0,1] op_sel_hi:[1,0]
	v_pk_add_f16 v17, v6, v12 op_sel:[0,1] op_sel_hi:[1,0] neg_lo:[0,1] neg_hi:[0,1]
	v_sub_f16_sdwa v6, v8, v12 dst_sel:DWORD dst_unused:UNUSED_PAD src0_sel:DWORD src1_sel:WORD_1
	v_bfi_b32 v17, s0, v15, v17
	v_sub_f16_e32 v18, v14, v12
                                        ; implicit-def: $vgpr8
.LBB0_19:
	s_andn2_saveexec_b64 s[0:1], s[4:5]
	s_cbranch_execz .LBB0_21
; %bb.20:
	ds_read_u16 v12, v0 offset:1762
	s_waitcnt lgkmcnt(1)
	v_alignbit_b32 v14, s0, v8, 16
	v_sub_f16_sdwa v6, v8, v8 dst_sel:DWORD dst_unused:UNUSED_PAD src0_sel:DWORD src1_sel:WORD_1
	v_pk_add_f16 v8, v14, v8
	v_pack_b32_f16 v17, v8, 0
	s_waitcnt lgkmcnt(0)
	v_xor_b32_e32 v8, 0x8000, v12
	v_mov_b32_e32 v18, 0
	ds_write_b16 v0, v8 offset:1762
.LBB0_21:
	s_or_b64 exec, exec, s[0:1]
	s_waitcnt lgkmcnt(0)
	v_mov_b32_e32 v8, 0
	v_lshlrev_b64 v[14:15], 2, v[7:8]
	v_mov_b32_e32 v19, s13
	v_add_co_u32_e64 v14, s[0:1], s12, v14
	v_addc_co_u32_e64 v15, s[0:1], v19, v15, s[0:1]
	global_load_dword v20, v[14:15], off offset:3512
	v_mov_b32_e32 v14, v8
	v_lshlrev_b64 v[14:15], 2, v[13:14]
	v_mov_b32_e32 v12, v8
	v_add_co_u32_e64 v14, s[0:1], s12, v14
	v_addc_co_u32_e64 v15, s[0:1], v19, v15, s[0:1]
	global_load_dword v21, v[14:15], off offset:3512
	v_lshlrev_b64 v[14:15], 2, v[11:12]
	s_mov_b32 s4, 0xffff
	v_add_co_u32_e64 v14, s[0:1], s12, v14
	v_addc_co_u32_e64 v15, s[0:1], v19, v15, s[0:1]
	global_load_dword v12, v[14:15], off offset:3512
	ds_write_b16 v16, v18 offset:3522
	ds_write_b32 v10, v17
	ds_write_b16 v16, v6 offset:3520
	v_mov_b32_e32 v10, v8
	v_lshl_add_u32 v14, v7, 2, v0
	v_lshlrev_b64 v[6:7], 2, v[9:10]
	ds_read_b32 v15, v14
	ds_read_b32 v17, v16 offset:3168
	v_add_co_u32_e64 v6, s[0:1], s12, v6
	v_addc_co_u32_e64 v7, s[0:1], v19, v7, s[0:1]
	global_load_dword v6, v[6:7], off offset:3512
	v_lshl_add_u32 v7, v13, 2, v0
	s_waitcnt lgkmcnt(0)
	v_pk_add_f16 v10, v15, v17 neg_lo:[0,1] neg_hi:[0,1]
	v_pk_add_f16 v13, v15, v17
	v_bfi_b32 v15, s4, v10, v13
	v_bfi_b32 v10, s4, v13, v10
	v_pk_mul_f16 v13, v15, 0.5 op_sel_hi:[1,0]
	v_pk_mul_f16 v10, v10, 0.5 op_sel_hi:[1,0]
	v_lshl_add_u32 v11, v11, 2, v0
	v_lshl_add_u32 v9, v9, 2, v0
	s_waitcnt vmcnt(3)
	v_pk_fma_f16 v15, v20, v13, v10 op_sel:[1,0,0]
	v_pk_mul_f16 v17, v20, v13 op_sel_hi:[0,1]
	v_pk_fma_f16 v18, v20, v13, v10 op_sel:[1,0,0] neg_lo:[1,0,0] neg_hi:[1,0,0]
	v_pk_fma_f16 v10, v20, v13, v10 op_sel:[1,0,0] neg_lo:[0,0,1] neg_hi:[0,0,1]
	v_pk_add_f16 v13, v15, v17 op_sel:[0,1] op_sel_hi:[1,0]
	v_pk_add_f16 v15, v15, v17 op_sel:[0,1] op_sel_hi:[1,0] neg_lo:[0,1] neg_hi:[0,1]
	v_pk_add_f16 v18, v18, v17 op_sel:[0,1] op_sel_hi:[1,0] neg_lo:[0,1] neg_hi:[0,1]
	v_pk_add_f16 v10, v10, v17 op_sel:[0,1] op_sel_hi:[1,0] neg_lo:[0,1] neg_hi:[0,1]
	v_bfi_b32 v13, s4, v13, v15
	v_bfi_b32 v10, s4, v18, v10
	ds_write_b32 v14, v13
	ds_write_b32 v16, v10 offset:3168
	ds_read_b32 v10, v7
	ds_read_b32 v13, v16 offset:2816
	s_waitcnt lgkmcnt(0)
	v_pk_add_f16 v14, v10, v13 neg_lo:[0,1] neg_hi:[0,1]
	v_pk_add_f16 v10, v10, v13
	v_bfi_b32 v13, s4, v14, v10
	v_bfi_b32 v10, s4, v10, v14
	v_pk_mul_f16 v13, v13, 0.5 op_sel_hi:[1,0]
	v_pk_mul_f16 v10, v10, 0.5 op_sel_hi:[1,0]
	s_waitcnt vmcnt(2)
	v_pk_fma_f16 v14, v21, v13, v10 op_sel:[1,0,0]
	v_pk_mul_f16 v15, v21, v13 op_sel_hi:[0,1]
	v_pk_fma_f16 v17, v21, v13, v10 op_sel:[1,0,0] neg_lo:[1,0,0] neg_hi:[1,0,0]
	v_pk_fma_f16 v10, v21, v13, v10 op_sel:[1,0,0] neg_lo:[0,0,1] neg_hi:[0,0,1]
	v_pk_add_f16 v13, v14, v15 op_sel:[0,1] op_sel_hi:[1,0]
	v_pk_add_f16 v14, v14, v15 op_sel:[0,1] op_sel_hi:[1,0] neg_lo:[0,1] neg_hi:[0,1]
	v_pk_add_f16 v17, v17, v15 op_sel:[0,1] op_sel_hi:[1,0] neg_lo:[0,1] neg_hi:[0,1]
	v_pk_add_f16 v10, v10, v15 op_sel:[0,1] op_sel_hi:[1,0] neg_lo:[0,1] neg_hi:[0,1]
	v_bfi_b32 v13, s4, v13, v14
	v_bfi_b32 v10, s4, v17, v10
	ds_write_b32 v7, v13
	ds_write_b32 v16, v10 offset:2816
	ds_read_b32 v7, v11
	ds_read_b32 v10, v16 offset:2464
	s_waitcnt lgkmcnt(0)
	v_pk_add_f16 v13, v7, v10 neg_lo:[0,1] neg_hi:[0,1]
	v_pk_add_f16 v7, v7, v10
	v_bfi_b32 v10, s4, v13, v7
	v_bfi_b32 v7, s4, v7, v13
	v_pk_mul_f16 v10, v10, 0.5 op_sel_hi:[1,0]
	v_pk_mul_f16 v7, v7, 0.5 op_sel_hi:[1,0]
	;; [unrolled: 22-line block ×3, first 2 shown]
	s_waitcnt vmcnt(0)
	v_pk_fma_f16 v11, v6, v10, v7 op_sel:[1,0,0]
	v_pk_mul_f16 v12, v6, v10 op_sel_hi:[0,1]
	v_pk_fma_f16 v13, v6, v10, v7 op_sel:[1,0,0] neg_lo:[1,0,0] neg_hi:[1,0,0]
	v_pk_fma_f16 v6, v6, v10, v7 op_sel:[1,0,0] neg_lo:[0,0,1] neg_hi:[0,0,1]
	v_pk_add_f16 v7, v11, v12 op_sel:[0,1] op_sel_hi:[1,0]
	v_pk_add_f16 v10, v11, v12 op_sel:[0,1] op_sel_hi:[1,0] neg_lo:[0,1] neg_hi:[0,1]
	v_pk_add_f16 v11, v13, v12 op_sel:[0,1] op_sel_hi:[1,0] neg_lo:[0,1] neg_hi:[0,1]
	;; [unrolled: 1-line block ×3, first 2 shown]
	v_bfi_b32 v7, s4, v7, v10
	v_bfi_b32 v6, s4, v11, v6
	ds_write_b32 v9, v7
	ds_write_b32 v16, v6 offset:2112
	s_waitcnt lgkmcnt(0)
	s_barrier
	s_and_saveexec_b64 s[0:1], vcc
	s_cbranch_execz .LBB0_24
; %bb.22:
	v_mul_lo_u32 v6, s3, v3
	v_mul_lo_u32 v4, s2, v4
	v_mad_u64_u32 v[9:10], s[0:1], s2, v3, 0
	v_lshl_add_u32 v3, v5, 2, v0
	v_mov_b32_e32 v0, s11
	v_add3_u32 v10, v10, v4, v6
	v_lshlrev_b64 v[9:10], 2, v[9:10]
	v_mov_b32_e32 v6, v8
	v_add_co_u32_e32 v4, vcc, s10, v9
	v_addc_co_u32_e32 v7, vcc, v0, v10, vcc
	v_lshlrev_b64 v[0:1], 2, v[1:2]
	ds_read2_b32 v[11:12], v3 offset1:88
	v_add_co_u32_e32 v0, vcc, v4, v0
	v_addc_co_u32_e32 v1, vcc, v7, v1, vcc
	v_lshlrev_b64 v[6:7], 2, v[5:6]
	v_add_u32_e32 v2, 0x200, v3
	v_add_co_u32_e32 v6, vcc, v0, v6
	v_addc_co_u32_e32 v7, vcc, v1, v7, vcc
	s_waitcnt lgkmcnt(0)
	global_store_dword v[6:7], v11, off
	v_add_u32_e32 v7, 0x58, v5
	v_lshlrev_b64 v[6:7], 2, v[7:8]
	ds_read2_b32 v[9:10], v2 offset0:48 offset1:136
	v_add_co_u32_e32 v6, vcc, v0, v6
	v_addc_co_u32_e32 v7, vcc, v1, v7, vcc
	global_store_dword v[6:7], v12, off
	v_add_u32_e32 v7, 0xb0, v5
	v_lshlrev_b64 v[6:7], 2, v[7:8]
	v_add_u32_e32 v2, 0x400, v3
	v_add_co_u32_e32 v6, vcc, v0, v6
	v_addc_co_u32_e32 v7, vcc, v1, v7, vcc
	s_waitcnt lgkmcnt(0)
	global_store_dword v[6:7], v9, off
	v_add_u32_e32 v7, 0x108, v5
	v_lshlrev_b64 v[6:7], 2, v[7:8]
	s_movk_i32 s0, 0x57
	v_add_co_u32_e32 v6, vcc, v0, v6
	v_addc_co_u32_e32 v7, vcc, v1, v7, vcc
	global_store_dword v[6:7], v10, off
	v_add_u32_e32 v7, 0x160, v5
	ds_read2_b32 v[9:10], v2 offset0:96 offset1:184
	v_lshlrev_b64 v[6:7], 2, v[7:8]
	v_add_u32_e32 v2, 0x800, v3
	v_add_co_u32_e32 v6, vcc, v0, v6
	v_addc_co_u32_e32 v7, vcc, v1, v7, vcc
	s_waitcnt lgkmcnt(0)
	global_store_dword v[6:7], v9, off
	v_add_u32_e32 v7, 0x1b8, v5
	v_lshlrev_b64 v[6:7], 2, v[7:8]
	v_add_co_u32_e32 v6, vcc, v0, v6
	v_addc_co_u32_e32 v7, vcc, v1, v7, vcc
	global_store_dword v[6:7], v10, off
	v_add_u32_e32 v7, 0x210, v5
	ds_read2_b32 v[9:10], v2 offset0:16 offset1:104
	v_lshlrev_b64 v[6:7], 2, v[7:8]
	v_add_u32_e32 v2, 0xa00, v3
	v_add_co_u32_e32 v6, vcc, v0, v6
	v_addc_co_u32_e32 v7, vcc, v1, v7, vcc
	s_waitcnt lgkmcnt(0)
	global_store_dword v[6:7], v9, off
	v_add_u32_e32 v7, 0x268, v5
	v_lshlrev_b64 v[6:7], 2, v[7:8]
	v_add_co_u32_e32 v6, vcc, v0, v6
	v_addc_co_u32_e32 v7, vcc, v1, v7, vcc
	global_store_dword v[6:7], v10, off
	v_add_u32_e32 v7, 0x2c0, v5
	ds_read2_b32 v[9:10], v2 offset0:64 offset1:152
	v_lshlrev_b64 v[6:7], 2, v[7:8]
	v_add_co_u32_e32 v6, vcc, v0, v6
	v_addc_co_u32_e32 v7, vcc, v1, v7, vcc
	s_waitcnt lgkmcnt(0)
	global_store_dword v[6:7], v9, off
	v_add_u32_e32 v7, 0x318, v5
	v_lshlrev_b64 v[6:7], 2, v[7:8]
	v_add_co_u32_e32 v6, vcc, v0, v6
	v_addc_co_u32_e32 v7, vcc, v1, v7, vcc
	v_cmp_eq_u32_e32 vcc, s0, v5
	global_store_dword v[6:7], v10, off
	s_and_b64 exec, exec, vcc
	s_cbranch_execz .LBB0_24
; %bb.23:
	ds_read_b32 v2, v3 offset:3172
	s_waitcnt lgkmcnt(0)
	global_store_dword v[0:1], v2, off offset:3520
.LBB0_24:
	s_endpgm
	.section	.rodata,"a",@progbits
	.p2align	6, 0x0
	.amdhsa_kernel fft_rtc_back_len880_factors_2_2_2_2_11_5_wgs_176_tpt_88_halfLds_half_op_CI_CI_unitstride_sbrr_R2C_dirReg
		.amdhsa_group_segment_fixed_size 0
		.amdhsa_private_segment_fixed_size 0
		.amdhsa_kernarg_size 104
		.amdhsa_user_sgpr_count 6
		.amdhsa_user_sgpr_private_segment_buffer 1
		.amdhsa_user_sgpr_dispatch_ptr 0
		.amdhsa_user_sgpr_queue_ptr 0
		.amdhsa_user_sgpr_kernarg_segment_ptr 1
		.amdhsa_user_sgpr_dispatch_id 0
		.amdhsa_user_sgpr_flat_scratch_init 0
		.amdhsa_user_sgpr_private_segment_size 0
		.amdhsa_uses_dynamic_stack 0
		.amdhsa_system_sgpr_private_segment_wavefront_offset 0
		.amdhsa_system_sgpr_workgroup_id_x 1
		.amdhsa_system_sgpr_workgroup_id_y 0
		.amdhsa_system_sgpr_workgroup_id_z 0
		.amdhsa_system_sgpr_workgroup_info 0
		.amdhsa_system_vgpr_workitem_id 0
		.amdhsa_next_free_vgpr 111
		.amdhsa_next_free_sgpr 28
		.amdhsa_reserve_vcc 1
		.amdhsa_reserve_flat_scratch 0
		.amdhsa_float_round_mode_32 0
		.amdhsa_float_round_mode_16_64 0
		.amdhsa_float_denorm_mode_32 3
		.amdhsa_float_denorm_mode_16_64 3
		.amdhsa_dx10_clamp 1
		.amdhsa_ieee_mode 1
		.amdhsa_fp16_overflow 0
		.amdhsa_exception_fp_ieee_invalid_op 0
		.amdhsa_exception_fp_denorm_src 0
		.amdhsa_exception_fp_ieee_div_zero 0
		.amdhsa_exception_fp_ieee_overflow 0
		.amdhsa_exception_fp_ieee_underflow 0
		.amdhsa_exception_fp_ieee_inexact 0
		.amdhsa_exception_int_div_zero 0
	.end_amdhsa_kernel
	.text
.Lfunc_end0:
	.size	fft_rtc_back_len880_factors_2_2_2_2_11_5_wgs_176_tpt_88_halfLds_half_op_CI_CI_unitstride_sbrr_R2C_dirReg, .Lfunc_end0-fft_rtc_back_len880_factors_2_2_2_2_11_5_wgs_176_tpt_88_halfLds_half_op_CI_CI_unitstride_sbrr_R2C_dirReg
                                        ; -- End function
	.section	.AMDGPU.csdata,"",@progbits
; Kernel info:
; codeLenInByte = 9004
; NumSgprs: 32
; NumVgprs: 111
; ScratchSize: 0
; MemoryBound: 0
; FloatMode: 240
; IeeeMode: 1
; LDSByteSize: 0 bytes/workgroup (compile time only)
; SGPRBlocks: 3
; VGPRBlocks: 27
; NumSGPRsForWavesPerEU: 32
; NumVGPRsForWavesPerEU: 111
; Occupancy: 2
; WaveLimiterHint : 1
; COMPUTE_PGM_RSRC2:SCRATCH_EN: 0
; COMPUTE_PGM_RSRC2:USER_SGPR: 6
; COMPUTE_PGM_RSRC2:TRAP_HANDLER: 0
; COMPUTE_PGM_RSRC2:TGID_X_EN: 1
; COMPUTE_PGM_RSRC2:TGID_Y_EN: 0
; COMPUTE_PGM_RSRC2:TGID_Z_EN: 0
; COMPUTE_PGM_RSRC2:TIDIG_COMP_CNT: 0
	.type	__hip_cuid_a0dc22edfe83a334,@object ; @__hip_cuid_a0dc22edfe83a334
	.section	.bss,"aw",@nobits
	.globl	__hip_cuid_a0dc22edfe83a334
__hip_cuid_a0dc22edfe83a334:
	.byte	0                               ; 0x0
	.size	__hip_cuid_a0dc22edfe83a334, 1

	.ident	"AMD clang version 19.0.0git (https://github.com/RadeonOpenCompute/llvm-project roc-6.4.0 25133 c7fe45cf4b819c5991fe208aaa96edf142730f1d)"
	.section	".note.GNU-stack","",@progbits
	.addrsig
	.addrsig_sym __hip_cuid_a0dc22edfe83a334
	.amdgpu_metadata
---
amdhsa.kernels:
  - .args:
      - .actual_access:  read_only
        .address_space:  global
        .offset:         0
        .size:           8
        .value_kind:     global_buffer
      - .offset:         8
        .size:           8
        .value_kind:     by_value
      - .actual_access:  read_only
        .address_space:  global
        .offset:         16
        .size:           8
        .value_kind:     global_buffer
      - .actual_access:  read_only
        .address_space:  global
        .offset:         24
        .size:           8
        .value_kind:     global_buffer
      - .actual_access:  read_only
        .address_space:  global
        .offset:         32
        .size:           8
        .value_kind:     global_buffer
      - .offset:         40
        .size:           8
        .value_kind:     by_value
      - .actual_access:  read_only
        .address_space:  global
        .offset:         48
        .size:           8
        .value_kind:     global_buffer
      - .actual_access:  read_only
        .address_space:  global
        .offset:         56
        .size:           8
        .value_kind:     global_buffer
      - .offset:         64
        .size:           4
        .value_kind:     by_value
      - .actual_access:  read_only
        .address_space:  global
        .offset:         72
        .size:           8
        .value_kind:     global_buffer
      - .actual_access:  read_only
        .address_space:  global
        .offset:         80
        .size:           8
        .value_kind:     global_buffer
      - .actual_access:  read_only
        .address_space:  global
        .offset:         88
        .size:           8
        .value_kind:     global_buffer
      - .actual_access:  write_only
        .address_space:  global
        .offset:         96
        .size:           8
        .value_kind:     global_buffer
    .group_segment_fixed_size: 0
    .kernarg_segment_align: 8
    .kernarg_segment_size: 104
    .language:       OpenCL C
    .language_version:
      - 2
      - 0
    .max_flat_workgroup_size: 176
    .name:           fft_rtc_back_len880_factors_2_2_2_2_11_5_wgs_176_tpt_88_halfLds_half_op_CI_CI_unitstride_sbrr_R2C_dirReg
    .private_segment_fixed_size: 0
    .sgpr_count:     32
    .sgpr_spill_count: 0
    .symbol:         fft_rtc_back_len880_factors_2_2_2_2_11_5_wgs_176_tpt_88_halfLds_half_op_CI_CI_unitstride_sbrr_R2C_dirReg.kd
    .uniform_work_group_size: 1
    .uses_dynamic_stack: false
    .vgpr_count:     111
    .vgpr_spill_count: 0
    .wavefront_size: 64
amdhsa.target:   amdgcn-amd-amdhsa--gfx906
amdhsa.version:
  - 1
  - 2
...

	.end_amdgpu_metadata
